;; amdgpu-corpus repo=ROCm/rocFFT kind=compiled arch=gfx1201 opt=O3
	.text
	.amdgcn_target "amdgcn-amd-amdhsa--gfx1201"
	.amdhsa_code_object_version 6
	.protected	fft_rtc_fwd_len143_factors_13_11_wgs_182_tpt_13_half_ip_CI_unitstride_sbrr_dirReg ; -- Begin function fft_rtc_fwd_len143_factors_13_11_wgs_182_tpt_13_half_ip_CI_unitstride_sbrr_dirReg
	.globl	fft_rtc_fwd_len143_factors_13_11_wgs_182_tpt_13_half_ip_CI_unitstride_sbrr_dirReg
	.p2align	8
	.type	fft_rtc_fwd_len143_factors_13_11_wgs_182_tpt_13_half_ip_CI_unitstride_sbrr_dirReg,@function
fft_rtc_fwd_len143_factors_13_11_wgs_182_tpt_13_half_ip_CI_unitstride_sbrr_dirReg: ; @fft_rtc_fwd_len143_factors_13_11_wgs_182_tpt_13_half_ip_CI_unitstride_sbrr_dirReg
; %bb.0:
	s_load_b128 s[4:7], s[0:1], 0x0
	v_mul_u32_u24_e32 v1, 0x13b2, v0
	s_clause 0x1
	s_load_b64 s[8:9], s[0:1], 0x50
	s_load_b64 s[10:11], s[0:1], 0x18
	v_mov_b32_e32 v3, 0
	v_lshrrev_b32_e32 v1, 16, v1
	s_delay_alu instid0(VALU_DEP_1) | instskip(SKIP_1) | instid1(VALU_DEP_4)
	v_mad_co_u64_u32 v[6:7], null, ttmp9, 14, v[1:2]
	v_mov_b32_e32 v1, 0
	v_dual_mov_b32 v2, 0 :: v_dual_mov_b32 v7, v3
	s_delay_alu instid0(VALU_DEP_1) | instskip(SKIP_3) | instid1(VALU_DEP_2)
	v_mov_b32_e32 v10, v7
	s_wait_kmcnt 0x0
	v_cmp_lt_u64_e64 s2, s[6:7], 2
	v_mov_b32_e32 v9, v6
	s_and_b32 vcc_lo, exec_lo, s2
	s_cbranch_vccnz .LBB0_8
; %bb.1:
	s_load_b64 s[2:3], s[0:1], 0x10
	v_dual_mov_b32 v1, 0 :: v_dual_mov_b32 v8, v7
	v_dual_mov_b32 v2, 0 :: v_dual_mov_b32 v7, v6
	s_add_nc_u64 s[12:13], s[10:11], 8
	s_mov_b64 s[14:15], 1
	s_wait_kmcnt 0x0
	s_add_nc_u64 s[16:17], s[2:3], 8
	s_mov_b32 s3, 0
.LBB0_2:                                ; =>This Inner Loop Header: Depth=1
	s_load_b64 s[18:19], s[16:17], 0x0
                                        ; implicit-def: $vgpr9_vgpr10
	s_mov_b32 s2, exec_lo
	s_wait_kmcnt 0x0
	v_or_b32_e32 v4, s19, v8
	s_delay_alu instid0(VALU_DEP_1)
	v_cmpx_ne_u64_e32 0, v[3:4]
	s_wait_alu 0xfffe
	s_xor_b32 s20, exec_lo, s2
	s_cbranch_execz .LBB0_4
; %bb.3:                                ;   in Loop: Header=BB0_2 Depth=1
	s_cvt_f32_u32 s2, s18
	s_cvt_f32_u32 s21, s19
	s_sub_nc_u64 s[24:25], 0, s[18:19]
	s_wait_alu 0xfffe
	s_delay_alu instid0(SALU_CYCLE_1) | instskip(SKIP_1) | instid1(SALU_CYCLE_2)
	s_fmamk_f32 s2, s21, 0x4f800000, s2
	s_wait_alu 0xfffe
	v_s_rcp_f32 s2, s2
	s_delay_alu instid0(TRANS32_DEP_1) | instskip(SKIP_1) | instid1(SALU_CYCLE_2)
	s_mul_f32 s2, s2, 0x5f7ffffc
	s_wait_alu 0xfffe
	s_mul_f32 s21, s2, 0x2f800000
	s_wait_alu 0xfffe
	s_delay_alu instid0(SALU_CYCLE_2) | instskip(SKIP_1) | instid1(SALU_CYCLE_2)
	s_trunc_f32 s21, s21
	s_wait_alu 0xfffe
	s_fmamk_f32 s2, s21, 0xcf800000, s2
	s_cvt_u32_f32 s23, s21
	s_wait_alu 0xfffe
	s_delay_alu instid0(SALU_CYCLE_1) | instskip(SKIP_1) | instid1(SALU_CYCLE_2)
	s_cvt_u32_f32 s22, s2
	s_wait_alu 0xfffe
	s_mul_u64 s[26:27], s[24:25], s[22:23]
	s_wait_alu 0xfffe
	s_mul_hi_u32 s29, s22, s27
	s_mul_i32 s28, s22, s27
	s_mul_hi_u32 s2, s22, s26
	s_mul_i32 s30, s23, s26
	s_wait_alu 0xfffe
	s_add_nc_u64 s[28:29], s[2:3], s[28:29]
	s_mul_hi_u32 s21, s23, s26
	s_mul_hi_u32 s31, s23, s27
	s_add_co_u32 s2, s28, s30
	s_wait_alu 0xfffe
	s_add_co_ci_u32 s2, s29, s21
	s_mul_i32 s26, s23, s27
	s_add_co_ci_u32 s27, s31, 0
	s_wait_alu 0xfffe
	s_add_nc_u64 s[26:27], s[2:3], s[26:27]
	s_wait_alu 0xfffe
	v_add_co_u32 v4, s2, s22, s26
	s_delay_alu instid0(VALU_DEP_1) | instskip(SKIP_1) | instid1(VALU_DEP_1)
	s_cmp_lg_u32 s2, 0
	s_add_co_ci_u32 s23, s23, s27
	v_readfirstlane_b32 s22, v4
	s_wait_alu 0xfffe
	s_delay_alu instid0(VALU_DEP_1)
	s_mul_u64 s[24:25], s[24:25], s[22:23]
	s_wait_alu 0xfffe
	s_mul_hi_u32 s27, s22, s25
	s_mul_i32 s26, s22, s25
	s_mul_hi_u32 s2, s22, s24
	s_mul_i32 s28, s23, s24
	s_wait_alu 0xfffe
	s_add_nc_u64 s[26:27], s[2:3], s[26:27]
	s_mul_hi_u32 s21, s23, s24
	s_mul_hi_u32 s22, s23, s25
	s_wait_alu 0xfffe
	s_add_co_u32 s2, s26, s28
	s_add_co_ci_u32 s2, s27, s21
	s_mul_i32 s24, s23, s25
	s_add_co_ci_u32 s25, s22, 0
	s_wait_alu 0xfffe
	s_add_nc_u64 s[24:25], s[2:3], s[24:25]
	s_wait_alu 0xfffe
	v_add_co_u32 v9, s2, v4, s24
	s_delay_alu instid0(VALU_DEP_1) | instskip(SKIP_1) | instid1(VALU_DEP_1)
	s_cmp_lg_u32 s2, 0
	s_add_co_ci_u32 s2, s23, s25
	v_mul_hi_u32 v13, v7, v9
	s_wait_alu 0xfffe
	v_mad_co_u64_u32 v[4:5], null, v7, s2, 0
	v_mad_co_u64_u32 v[9:10], null, v8, v9, 0
	;; [unrolled: 1-line block ×3, first 2 shown]
	s_delay_alu instid0(VALU_DEP_3) | instskip(SKIP_1) | instid1(VALU_DEP_4)
	v_add_co_u32 v4, vcc_lo, v13, v4
	s_wait_alu 0xfffd
	v_add_co_ci_u32_e32 v5, vcc_lo, 0, v5, vcc_lo
	s_delay_alu instid0(VALU_DEP_2) | instskip(SKIP_1) | instid1(VALU_DEP_2)
	v_add_co_u32 v4, vcc_lo, v4, v9
	s_wait_alu 0xfffd
	v_add_co_ci_u32_e32 v4, vcc_lo, v5, v10, vcc_lo
	s_wait_alu 0xfffd
	v_add_co_ci_u32_e32 v5, vcc_lo, 0, v12, vcc_lo
	s_delay_alu instid0(VALU_DEP_2) | instskip(SKIP_1) | instid1(VALU_DEP_2)
	v_add_co_u32 v9, vcc_lo, v4, v11
	s_wait_alu 0xfffd
	v_add_co_ci_u32_e32 v10, vcc_lo, 0, v5, vcc_lo
	s_delay_alu instid0(VALU_DEP_2) | instskip(SKIP_1) | instid1(VALU_DEP_3)
	v_mul_lo_u32 v11, s19, v9
	v_mad_co_u64_u32 v[4:5], null, s18, v9, 0
	v_mul_lo_u32 v12, s18, v10
	s_delay_alu instid0(VALU_DEP_2) | instskip(NEXT) | instid1(VALU_DEP_2)
	v_sub_co_u32 v4, vcc_lo, v7, v4
	v_add3_u32 v5, v5, v12, v11
	s_delay_alu instid0(VALU_DEP_1) | instskip(SKIP_1) | instid1(VALU_DEP_1)
	v_sub_nc_u32_e32 v11, v8, v5
	s_wait_alu 0xfffd
	v_subrev_co_ci_u32_e64 v11, s2, s19, v11, vcc_lo
	v_add_co_u32 v12, s2, v9, 2
	s_wait_alu 0xf1ff
	v_add_co_ci_u32_e64 v13, s2, 0, v10, s2
	v_sub_co_u32 v14, s2, v4, s18
	v_sub_co_ci_u32_e32 v5, vcc_lo, v8, v5, vcc_lo
	s_wait_alu 0xf1ff
	v_subrev_co_ci_u32_e64 v11, s2, 0, v11, s2
	s_delay_alu instid0(VALU_DEP_3) | instskip(NEXT) | instid1(VALU_DEP_3)
	v_cmp_le_u32_e32 vcc_lo, s18, v14
	v_cmp_eq_u32_e64 s2, s19, v5
	s_wait_alu 0xfffd
	v_cndmask_b32_e64 v14, 0, -1, vcc_lo
	v_cmp_le_u32_e32 vcc_lo, s19, v11
	s_wait_alu 0xfffd
	v_cndmask_b32_e64 v15, 0, -1, vcc_lo
	v_cmp_le_u32_e32 vcc_lo, s18, v4
	;; [unrolled: 3-line block ×3, first 2 shown]
	s_wait_alu 0xfffd
	v_cndmask_b32_e64 v16, 0, -1, vcc_lo
	v_cmp_eq_u32_e32 vcc_lo, s19, v11
	s_wait_alu 0xf1ff
	s_delay_alu instid0(VALU_DEP_2)
	v_cndmask_b32_e64 v4, v16, v4, s2
	s_wait_alu 0xfffd
	v_cndmask_b32_e32 v11, v15, v14, vcc_lo
	v_add_co_u32 v14, vcc_lo, v9, 1
	s_wait_alu 0xfffd
	v_add_co_ci_u32_e32 v15, vcc_lo, 0, v10, vcc_lo
	s_delay_alu instid0(VALU_DEP_3) | instskip(SKIP_1) | instid1(VALU_DEP_2)
	v_cmp_ne_u32_e32 vcc_lo, 0, v11
	s_wait_alu 0xfffd
	v_cndmask_b32_e32 v5, v15, v13, vcc_lo
	v_cndmask_b32_e32 v11, v14, v12, vcc_lo
	v_cmp_ne_u32_e32 vcc_lo, 0, v4
	s_wait_alu 0xfffd
	s_delay_alu instid0(VALU_DEP_2)
	v_dual_cndmask_b32 v10, v10, v5 :: v_dual_cndmask_b32 v9, v9, v11
.LBB0_4:                                ;   in Loop: Header=BB0_2 Depth=1
	s_wait_alu 0xfffe
	s_and_not1_saveexec_b32 s2, s20
	s_cbranch_execz .LBB0_6
; %bb.5:                                ;   in Loop: Header=BB0_2 Depth=1
	v_cvt_f32_u32_e32 v4, s18
	s_sub_co_i32 s20, 0, s18
	s_delay_alu instid0(VALU_DEP_1) | instskip(NEXT) | instid1(TRANS32_DEP_1)
	v_rcp_iflag_f32_e32 v4, v4
	v_mul_f32_e32 v4, 0x4f7ffffe, v4
	s_delay_alu instid0(VALU_DEP_1) | instskip(SKIP_1) | instid1(VALU_DEP_1)
	v_cvt_u32_f32_e32 v4, v4
	s_wait_alu 0xfffe
	v_mul_lo_u32 v5, s20, v4
	s_delay_alu instid0(VALU_DEP_1) | instskip(NEXT) | instid1(VALU_DEP_1)
	v_mul_hi_u32 v5, v4, v5
	v_add_nc_u32_e32 v4, v4, v5
	s_delay_alu instid0(VALU_DEP_1) | instskip(NEXT) | instid1(VALU_DEP_1)
	v_mul_hi_u32 v4, v7, v4
	v_mul_lo_u32 v5, v4, s18
	v_add_nc_u32_e32 v9, 1, v4
	s_delay_alu instid0(VALU_DEP_2) | instskip(NEXT) | instid1(VALU_DEP_1)
	v_sub_nc_u32_e32 v5, v7, v5
	v_subrev_nc_u32_e32 v10, s18, v5
	v_cmp_le_u32_e32 vcc_lo, s18, v5
	s_wait_alu 0xfffd
	s_delay_alu instid0(VALU_DEP_2) | instskip(SKIP_1) | instid1(VALU_DEP_2)
	v_dual_cndmask_b32 v5, v5, v10 :: v_dual_mov_b32 v10, v3
	v_cndmask_b32_e32 v4, v4, v9, vcc_lo
	v_cmp_le_u32_e32 vcc_lo, s18, v5
	s_delay_alu instid0(VALU_DEP_2) | instskip(SKIP_1) | instid1(VALU_DEP_1)
	v_add_nc_u32_e32 v9, 1, v4
	s_wait_alu 0xfffd
	v_cndmask_b32_e32 v9, v4, v9, vcc_lo
.LBB0_6:                                ;   in Loop: Header=BB0_2 Depth=1
	s_wait_alu 0xfffe
	s_or_b32 exec_lo, exec_lo, s2
	s_load_b64 s[20:21], s[12:13], 0x0
	v_mul_lo_u32 v11, v10, s18
	v_mul_lo_u32 v12, v9, s19
	v_mad_co_u64_u32 v[4:5], null, v9, s18, 0
	s_add_nc_u64 s[14:15], s[14:15], 1
	s_add_nc_u64 s[12:13], s[12:13], 8
	s_wait_alu 0xfffe
	v_cmp_ge_u64_e64 s2, s[14:15], s[6:7]
	s_add_nc_u64 s[16:17], s[16:17], 8
	s_delay_alu instid0(VALU_DEP_2) | instskip(NEXT) | instid1(VALU_DEP_3)
	v_add3_u32 v5, v5, v12, v11
	v_sub_co_u32 v4, vcc_lo, v7, v4
	s_wait_alu 0xfffd
	s_delay_alu instid0(VALU_DEP_2) | instskip(SKIP_3) | instid1(VALU_DEP_2)
	v_sub_co_ci_u32_e32 v5, vcc_lo, v8, v5, vcc_lo
	s_and_b32 vcc_lo, exec_lo, s2
	s_wait_kmcnt 0x0
	v_mul_lo_u32 v7, s21, v4
	v_mul_lo_u32 v5, s20, v5
	v_mad_co_u64_u32 v[1:2], null, s20, v4, v[1:2]
	s_delay_alu instid0(VALU_DEP_1)
	v_add3_u32 v2, v7, v2, v5
	s_wait_alu 0xfffe
	s_cbranch_vccnz .LBB0_8
; %bb.7:                                ;   in Loop: Header=BB0_2 Depth=1
	v_dual_mov_b32 v7, v9 :: v_dual_mov_b32 v8, v10
	s_branch .LBB0_2
.LBB0_8:
	s_lshl_b64 s[2:3], s[6:7], 3
	v_mul_hi_u32 v3, 0x13b13b14, v0
	s_wait_alu 0xfffe
	s_add_nc_u64 s[2:3], s[10:11], s[2:3]
                                        ; implicit-def: $vgpr29
                                        ; implicit-def: $vgpr16
                                        ; implicit-def: $vgpr28
                                        ; implicit-def: $vgpr15
                                        ; implicit-def: $vgpr27
                                        ; implicit-def: $vgpr14
                                        ; implicit-def: $vgpr26
                                        ; implicit-def: $vgpr13
                                        ; implicit-def: $vgpr25
                                        ; implicit-def: $vgpr12
                                        ; implicit-def: $vgpr24
                                        ; implicit-def: $vgpr11
                                        ; implicit-def: $vgpr17
                                        ; implicit-def: $vgpr18
                                        ; implicit-def: $vgpr19
                                        ; implicit-def: $vgpr21
                                        ; implicit-def: $vgpr8
                                        ; implicit-def: $vgpr22
                                        ; implicit-def: $vgpr23
                                        ; implicit-def: $vgpr20
	s_load_b64 s[2:3], s[2:3], 0x0
	s_load_b64 s[0:1], s[0:1], 0x20
	s_delay_alu instid0(VALU_DEP_1) | instskip(NEXT) | instid1(VALU_DEP_1)
	v_mul_u32_u24_e32 v3, 13, v3
	v_sub_nc_u32_e32 v4, v0, v3
	v_mov_b32_e32 v3, 0
                                        ; implicit-def: $vgpr0
	s_wait_kmcnt 0x0
	v_mul_lo_u32 v5, s2, v10
	v_mul_lo_u32 v7, s3, v9
	v_mad_co_u64_u32 v[1:2], null, s2, v9, v[1:2]
	v_cmp_gt_u64_e32 vcc_lo, s[0:1], v[9:10]
                                        ; implicit-def: $vgpr9
                                        ; implicit-def: $vgpr10
	s_delay_alu instid0(VALU_DEP_2)
	v_add3_u32 v2, v7, v2, v5
                                        ; implicit-def: $vgpr5
                                        ; implicit-def: $vgpr7
	s_and_saveexec_b32 s1, vcc_lo
	s_cbranch_execz .LBB0_12
; %bb.9:
	v_cmp_gt_u32_e64 s0, 11, v4
                                        ; implicit-def: $vgpr20
                                        ; implicit-def: $vgpr10
                                        ; implicit-def: $vgpr23
                                        ; implicit-def: $vgpr9
                                        ; implicit-def: $vgpr22
                                        ; implicit-def: $vgpr8
                                        ; implicit-def: $vgpr21
                                        ; implicit-def: $vgpr7
                                        ; implicit-def: $vgpr19
                                        ; implicit-def: $vgpr5
                                        ; implicit-def: $vgpr18
                                        ; implicit-def: $vgpr0
                                        ; implicit-def: $vgpr17
                                        ; implicit-def: $vgpr11
                                        ; implicit-def: $vgpr24
                                        ; implicit-def: $vgpr12
                                        ; implicit-def: $vgpr25
                                        ; implicit-def: $vgpr13
                                        ; implicit-def: $vgpr26
                                        ; implicit-def: $vgpr14
                                        ; implicit-def: $vgpr27
                                        ; implicit-def: $vgpr15
                                        ; implicit-def: $vgpr28
                                        ; implicit-def: $vgpr16
                                        ; implicit-def: $vgpr29
	s_delay_alu instid0(VALU_DEP_1)
	s_and_saveexec_b32 s2, s0
	s_cbranch_execz .LBB0_11
; %bb.10:
	v_mov_b32_e32 v5, 0
	v_lshlrev_b64_e32 v[7:8], 2, v[1:2]
	s_delay_alu instid0(VALU_DEP_2) | instskip(NEXT) | instid1(VALU_DEP_2)
	v_lshlrev_b64_e32 v[9:10], 2, v[4:5]
	v_add_co_u32 v0, s0, s8, v7
	s_wait_alu 0xf1ff
	s_delay_alu instid0(VALU_DEP_3) | instskip(NEXT) | instid1(VALU_DEP_2)
	v_add_co_ci_u32_e64 v3, s0, s9, v8, s0
	v_add_co_u32 v17, s0, v0, v9
	s_wait_alu 0xf1ff
	s_delay_alu instid0(VALU_DEP_2)
	v_add_co_ci_u32_e64 v18, s0, v3, v10, s0
	s_clause 0xc
	global_load_b32 v16, v[17:18], off offset:44
	global_load_b32 v15, v[17:18], off offset:88
	;; [unrolled: 1-line block ×12, first 2 shown]
	global_load_b32 v20, v[17:18], off
	s_wait_loadcnt 0xc
	v_lshrrev_b32_e32 v29, 16, v16
	s_wait_loadcnt 0xb
	v_lshrrev_b32_e32 v28, 16, v15
	;; [unrolled: 2-line block ×12, first 2 shown]
.LBB0_11:
	s_wait_alu 0xfffe
	s_or_b32 exec_lo, exec_lo, s2
	v_mov_b32_e32 v3, v4
.LBB0_12:
	s_wait_alu 0xfffe
	s_or_b32 exec_lo, exec_lo, s1
	v_lshrrev_b32_e32 v30, 1, v6
	s_mov_b32 s1, exec_lo
	s_delay_alu instid0(VALU_DEP_1) | instskip(NEXT) | instid1(VALU_DEP_1)
	v_mul_hi_u32 v30, 0x92492493, v30
	v_lshrrev_b32_e32 v30, 2, v30
	s_delay_alu instid0(VALU_DEP_1) | instskip(NEXT) | instid1(VALU_DEP_1)
	v_mul_lo_u32 v30, v30, 14
	v_sub_nc_u32_e32 v6, v6, v30
	s_delay_alu instid0(VALU_DEP_1) | instskip(NEXT) | instid1(VALU_DEP_1)
	v_mul_u32_u24_e32 v6, 0x8f, v6
	v_lshlrev_b32_e32 v6, 2, v6
	v_cmpx_gt_u32_e32 11, v4
	s_cbranch_execz .LBB0_14
; %bb.13:
	v_sub_f16_e32 v48, v16, v0
	v_add_f16_e32 v33, v29, v17
	v_sub_f16_e32 v49, v15, v5
	s_wait_loadcnt 0x0
	v_lshrrev_b32_e32 v30, 16, v20
	v_add_f16_e32 v34, v28, v18
	v_mul_f16_e32 v50, 0xb3a8, v48
	v_sub_f16_e32 v51, v14, v7
	v_mul_f16_e32 v53, 0x3770, v49
	v_add_f16_e32 v31, v27, v19
	v_sub_f16_e32 v52, v13, v8
	v_fmamk_f16 v35, v33, 0xbbc4, v50
	v_mul_f16_e32 v55, 0xb94e, v51
	v_fmamk_f16 v37, v34, 0x3b15, v53
	v_add_f16_e32 v56, v16, v0
	v_add_f16_e32 v32, v26, v21
	;; [unrolled: 1-line block ×3, first 2 shown]
	v_sub_f16_e32 v54, v12, v9
	v_sub_f16_e32 v36, v29, v17
	v_mul_f16_e32 v57, 0x3a95, v52
	v_fmamk_f16 v38, v31, 0xb9fd, v55
	v_add_f16_e32 v35, v37, v35
	v_add_f16_e32 v58, v15, v5
	v_mul_f16_e32 v59, 0xbbc4, v56
	v_mul_f16_e32 v60, 0xbb7b, v54
	v_fmamk_f16 v39, v32, 0x388b, v57
	v_add_f16_e32 v38, v38, v35
	v_add_f16_e32 v35, v25, v22
	v_fmamk_f16 v40, v36, 0x33a8, v59
	v_mul_f16_e32 v61, 0x3b15, v58
	v_sub_f16_e32 v37, v28, v18
	v_add_f16_e32 v62, v14, v7
	v_add_f16_e32 v39, v39, v38
	v_fmamk_f16 v41, v35, 0xb5ac, v60
	v_add_f16_e32 v40, v40, v20
	v_fmamk_f16 v42, v37, 0xb770, v61
	v_mul_f16_e32 v63, 0xb9fd, v62
	v_sub_f16_e32 v38, v27, v19
	v_add_f16_e32 v64, v13, v8
	v_add_f16_e32 v41, v41, v39
	;; [unrolled: 1-line block ×3, first 2 shown]
	v_sub_f16_e32 v39, v26, v21
	v_fmamk_f16 v43, v38, 0x394e, v63
	v_mul_f16_e32 v66, 0x388b, v64
	v_mul_f16_e32 v67, 0xb94e, v48
	;; [unrolled: 1-line block ×3, first 2 shown]
	v_add_f16_e32 v70, v12, v9
	v_add_f16_e32 v42, v43, v42
	v_fmamk_f16 v43, v39, 0xba95, v66
	v_fmamk_f16 v44, v33, 0xb9fd, v67
	v_sub_f16_e32 v65, v11, v10
	v_mul_f16_e32 v71, 0xba95, v51
	v_mul_f16_e32 v72, 0xb5ac, v70
	v_add_f16_e32 v46, v43, v42
	v_add_f16_e32 v43, v44, v30
	v_fmamk_f16 v44, v34, 0x2fb7, v69
	v_sub_f16_e32 v42, v25, v22
	v_add_f16_e32 v73, v11, v10
	v_mul_f16_e32 v68, 0x3bf1, v65
	v_add_f16_e32 v40, v24, v23
	v_add_f16_e32 v44, v44, v43
	v_fmamk_f16 v47, v31, 0x388b, v71
	v_mul_f16_e32 v74, 0x33a8, v52
	v_fmamk_f16 v75, v42, 0x3b7b, v72
	v_mul_f16_e32 v76, 0x2fb7, v73
	v_sub_f16_e32 v43, v24, v23
	v_fmamk_f16 v45, v40, 0x2fb7, v68
	v_add_f16_e32 v44, v47, v44
	v_fmamk_f16 v47, v32, 0xbbc4, v74
	v_mul_f16_e32 v77, 0x3770, v54
	v_add_f16_e32 v46, v75, v46
	v_mul_f16_e32 v75, 0xb9fd, v56
	v_fmamk_f16 v78, v43, 0xbbf1, v76
	v_add_f16_e32 v47, v47, v44
	v_fmamk_f16 v79, v35, 0x3b15, v77
	v_add_f16_e32 v41, v45, v41
	v_fmamk_f16 v45, v36, 0x394e, v75
	v_mul_f16_e32 v80, 0x2fb7, v58
	v_add_f16_e32 v44, v78, v46
	v_mul_f16_e32 v78, 0xbb7b, v48
	v_add_f16_e32 v46, v79, v47
	v_add_f16_e32 v45, v45, v20
	v_fmamk_f16 v47, v37, 0xbbf1, v80
	v_mul_f16_e32 v79, 0x388b, v62
	v_fmamk_f16 v82, v33, 0xb5ac, v78
	v_mul_f16_e32 v83, 0x394e, v49
	v_mul_f16_e32 v84, 0xbbc4, v64
	v_add_f16_e32 v45, v47, v45
	v_fmamk_f16 v47, v38, 0x3a95, v79
	v_add_f16_e32 v82, v82, v30
	v_fmamk_f16 v85, v34, 0xb9fd, v83
	v_mul_f16_e32 v86, 0x3770, v51
	v_mul_f16_e32 v87, 0x3b15, v70
	v_add_f16_e32 v45, v47, v45
	v_fmamk_f16 v47, v39, 0xb3a8, v84
	v_add_f16_e32 v82, v85, v82
	v_fmamk_f16 v85, v31, 0x3b15, v86
	v_mul_f16_e32 v88, 0xbbf1, v52
	v_mul_f16_e32 v81, 0xbb7b, v65
	v_add_f16_e32 v45, v47, v45
	v_fmamk_f16 v47, v42, 0xb770, v87
	v_mul_f16_e32 v89, 0xb5ac, v73
	v_add_f16_e32 v82, v85, v82
	v_fmamk_f16 v85, v32, 0x2fb7, v88
	v_mul_f16_e32 v90, 0x33a8, v54
	v_mul_f16_e32 v91, 0xb5ac, v56
	v_fmamk_f16 v92, v40, 0xb5ac, v81
	v_add_f16_e32 v47, v47, v45
	v_fmamk_f16 v93, v43, 0x3b7b, v89
	v_add_f16_e32 v82, v85, v82
	v_fmamk_f16 v85, v36, 0x3b7b, v91
	v_mul_f16_e32 v94, 0xb9fd, v58
	v_fmamk_f16 v95, v35, 0xbbc4, v90
	v_add_f16_e32 v45, v92, v46
	v_mul_f16_e32 v97, 0x3b15, v62
	v_add_f16_e32 v85, v85, v20
	v_fmamk_f16 v92, v37, 0xb94e, v94
	v_add_f16_e32 v46, v93, v47
	v_add_f16_e32 v47, v95, v82
	v_mul_f16_e32 v82, 0xbbf1, v48
	v_mul_f16_e32 v96, 0x3a95, v65
	v_add_f16_e32 v85, v92, v85
	v_fmamk_f16 v92, v38, 0xb770, v97
	v_mul_f16_e32 v93, 0x2fb7, v64
	v_fmamk_f16 v98, v33, 0x2fb7, v82
	v_mul_f16_e32 v99, 0xb3a8, v49
	v_fmamk_f16 v95, v40, 0x388b, v96
	v_add_f16_e32 v85, v92, v85
	v_fmamk_f16 v92, v39, 0x3bf1, v93
	v_mul_f16_e32 v100, 0xbbc4, v70
	v_add_f16_e32 v98, v98, v30
	v_fmamk_f16 v101, v34, 0xbbc4, v99
	v_mul_f16_e32 v102, 0x3b7b, v51
	v_add_f16_e32 v85, v92, v85
	v_fmamk_f16 v92, v42, 0xb3a8, v100
	v_add_f16_e32 v47, v95, v47
	v_add_f16_e32 v95, v101, v98
	v_fmamk_f16 v98, v31, 0xb5ac, v102
	v_mul_f16_e32 v101, 0x3770, v52
	v_mul_f16_e32 v103, 0x2fb7, v56
	v_add_f16_e32 v85, v92, v85
	v_mul_f16_e32 v92, 0x388b, v73
	v_add_f16_e32 v95, v98, v95
	v_fmamk_f16 v98, v32, 0x3b15, v101
	v_fmamk_f16 v104, v36, 0x3bf1, v103
	v_mul_f16_e32 v105, 0xbbc4, v58
	v_fmamk_f16 v107, v43, 0xba95, v92
	v_mul_f16_e32 v108, 0xb5ac, v62
	v_add_f16_e32 v95, v98, v95
	v_add_f16_e32 v98, v104, v20
	v_fmamk_f16 v104, v37, 0x33a8, v105
	v_add_f16_e32 v85, v107, v85
	v_mul_f16_e32 v107, 0x3b15, v64
	v_mul_f16_e32 v112, 0x388b, v70
	;; [unrolled: 1-line block ×3, first 2 shown]
	v_add_f16_e32 v98, v104, v98
	v_fmamk_f16 v104, v38, 0xbb7b, v108
	v_mul_f16_e32 v117, 0x388b, v56
	v_mul_f16_e32 v119, 0xb5ac, v58
	v_mul_f16_e32 v122, 0xbbc4, v62
	v_mul_f16_e32 v124, 0xb9fd, v64
	v_add_f16_e32 v98, v104, v98
	v_fmamk_f16 v104, v39, 0xb770, v107
	v_fmamk_f16 v121, v37, 0x3b7b, v119
	v_mul_f16_e32 v125, 0x2fb7, v70
	v_mul_f16_e32 v126, 0x3b15, v73
	;; [unrolled: 1-line block ×3, first 2 shown]
	v_add_f16_e32 v98, v104, v98
	v_fmamk_f16 v104, v42, 0x3a95, v112
	v_mul_f16_e32 v58, 0x388b, v58
	v_mul_f16_e32 v62, 0x2fb7, v62
	;; [unrolled: 1-line block ×3, first 2 shown]
	v_fma_f16 v50, v33, 0xbbc4, -v50
	v_add_f16_e32 v98, v104, v98
	v_fmamk_f16 v104, v43, 0x394e, v114
	v_fma_f16 v128, 0x3a95, v37, v58
	v_fma_f16 v53, v34, 0x3b15, -v53
	v_add_f16_e32 v50, v50, v30
	v_mul_f16_e32 v70, 0xb9fd, v70
	v_add_f16_e32 v98, v104, v98
	v_fmamk_f16 v104, v36, 0x3a95, v117
	v_mul_f16_e32 v73, 0xbbc4, v73
	v_add_f16_e32 v50, v53, v50
	v_fma_f16 v53, v31, 0xb9fd, -v55
	v_fmamk_f16 v55, v42, 0x394e, v70
	v_add_f16_e32 v104, v104, v20
	v_fmac_f16_e32 v59, 0xb3a8, v36
	v_fmac_f16_e32 v61, 0x3770, v37
	v_add_f16_e32 v50, v53, v50
	v_fma_f16 v53, v32, 0x388b, -v57
	v_add_f16_e32 v104, v121, v104
	v_fmamk_f16 v121, v38, 0x33a8, v122
	v_fmamk_f16 v57, v43, 0x33a8, v73
	v_add_f16_e32 v59, v59, v20
	v_add_f16_e32 v50, v53, v50
	v_fma_f16 v53, v35, 0xb5ac, -v60
	v_add_f16_e32 v104, v121, v104
	v_fmamk_f16 v121, v39, 0xb94e, v124
	v_fma_f16 v60, v34, 0x2fb7, -v69
	v_add_f16_e32 v59, v61, v59
	v_add_f16_e32 v50, v53, v50
	v_fma_f16 v53, v40, 0x2fb7, -v68
	v_add_f16_e32 v104, v121, v104
	v_fmamk_f16 v121, v42, 0xbbf1, v125
	v_fmac_f16_e32 v63, 0xb94e, v38
	v_fma_f16 v61, v33, 0xb5ac, -v78
	v_add_f16_e32 v50, v53, v50
	v_fmac_f16_e32 v66, 0x3a95, v39
	v_add_f16_e32 v104, v121, v104
	v_fmamk_f16 v121, v43, 0xb770, v126
	v_add_f16_e32 v59, v63, v59
	v_add_f16_e32 v61, v61, v30
	v_fma_f16 v63, v34, 0xb9fd, -v83
	v_mul_f16_e32 v106, 0xba95, v54
	v_add_f16_e32 v104, v121, v104
	v_fmamk_f16 v121, v36, 0x3770, v56
	v_add_f16_e32 v59, v66, v59
	v_add_f16_e32 v61, v63, v61
	v_fma_f16 v63, v31, 0x3b15, -v86
	v_fma_f16 v66, v33, 0x2fb7, -v82
	v_add_f16_e32 v121, v121, v20
	v_mul_f16_e32 v111, 0xba95, v48
	v_mul_f16_e32 v110, 0xb94e, v65
	;; [unrolled: 1-line block ×3, first 2 shown]
	v_add_f16_e32 v66, v66, v30
	v_add_f16_e64 v121, v128, v121
	v_fma_f16 v128, 0x3bf1, v38, v62
	v_fma_f16 v68, v33, 0x388b, -v111
	v_fmamk_f16 v109, v35, 0x388b, v106
	v_mul_f16_e32 v116, 0xb3a8, v51
	v_fma_f16 v69, v34, 0xb5ac, -v113
	v_add_f16_e64 v121, v128, v121
	v_fma_f16 v128, 0x3b7b, v39, v64
	v_add_f16_e32 v68, v68, v30
	v_add_f16_e32 v95, v109, v95
	v_fmamk_f16 v109, v40, 0xb9fd, v110
	v_mul_f16_e32 v118, 0x394e, v52
	v_add_f16_e64 v121, v128, v121
	v_add_f16_e32 v29, v29, v30
	v_add_f16_e32 v16, v16, v20
	;; [unrolled: 1-line block ×3, first 2 shown]
	v_fmamk_f16 v109, v33, 0x388b, v111
	v_add_f16_e32 v55, v55, v121
	v_mul_f16_e32 v120, 0x3bf1, v54
	v_add_f16_e32 v28, v28, v29
	v_add_f16_e32 v15, v15, v16
	;; [unrolled: 1-line block ×4, first 2 shown]
	v_fma_f16 v57, v33, 0xb9fd, -v67
	v_fma_f16 v67, v34, 0xbbc4, -v99
	v_fmamk_f16 v115, v34, 0xb5ac, v113
	v_mul_f16_e32 v123, 0x3770, v65
	v_fma_f16 v16, v35, 0x2fb7, -v120
	v_add_f16_e32 v57, v57, v30
	v_add_f16_e32 v27, v27, v28
	;; [unrolled: 1-line block ×4, first 2 shown]
	v_fmamk_f16 v115, v31, 0xbbc4, v116
	v_add_f16_e32 v53, v60, v57
	v_fma_f16 v57, v31, 0x388b, -v71
	v_add_f16_e32 v26, v26, v27
	v_add_f16_e32 v13, v13, v14
	;; [unrolled: 1-line block ×3, first 2 shown]
	v_fmamk_f16 v115, v32, 0xb9fd, v118
	v_add_f16_e32 v53, v57, v53
	v_fma_f16 v57, v32, 0xbbc4, -v74
	v_add_f16_e32 v12, v12, v13
	v_mul_f16_e32 v48, 0xb770, v48
	v_add_f16_e32 v109, v115, v109
	v_fmamk_f16 v115, v35, 0x2fb7, v120
	v_add_f16_e32 v53, v57, v53
	v_fma_f16 v57, v35, 0x3b15, -v77
	v_add_f16_e32 v11, v11, v12
	v_mul_f16_e32 v49, 0xba95, v49
	v_add_f16_e32 v109, v115, v109
	v_fmamk_f16 v115, v40, 0x3b15, v123
	v_add_f16_e32 v53, v57, v53
	v_fma_f16 v57, v40, 0xb5ac, -v81
	v_add_f16_e32 v10, v10, v11
	v_fmac_f16_e32 v75, 0xb94e, v36
	v_add_f16_e32 v109, v115, v109
	v_fmamk_f16 v115, v33, 0x3b15, v48
	v_add_f16_e32 v53, v57, v53
	v_add_f16_e32 v57, v63, v61
	v_fma_f16 v61, v32, 0x2fb7, -v88
	v_mul_f16_e32 v51, 0xbbf1, v51
	v_fmac_f16_e32 v91, 0xbb7b, v36
	v_fmac_f16_e32 v103, 0xbbf1, v36
	;; [unrolled: 1-line block ×3, first 2 shown]
	v_add_f16_e32 v57, v61, v57
	v_fma_f16 v61, v35, 0xbbc4, -v90
	v_fmac_f16_e32 v56, 0xb770, v36
	v_add_f16_e32 v9, v9, v10
	v_add_f16_e32 v115, v115, v30
	v_fmamk_f16 v127, v34, 0x388b, v49
	v_add_f16_e32 v57, v61, v57
	v_fma_f16 v61, v40, 0x388b, -v96
	v_add_f16_e32 v60, v75, v20
	v_fmac_f16_e32 v80, 0x3bf1, v37
	v_mul_f16_e32 v52, 0xbb7b, v52
	v_add_f16_e32 v63, v91, v20
	v_add_f16_e32 v57, v61, v57
	;; [unrolled: 1-line block ×3, first 2 shown]
	v_fma_f16 v66, v31, 0xb5ac, -v102
	v_fmac_f16_e32 v94, 0x394e, v37
	v_add_f16_e32 v67, v103, v20
	v_fmac_f16_e32 v105, 0xb3a8, v37
	v_fmac_f16_e32 v119, 0xbb7b, v37
	v_add_f16_e32 v61, v66, v61
	v_fma_f16 v66, v32, 0x3b15, -v101
	v_add_f16_e32 v11, v56, v20
	v_fmac_f16_e32 v58, 0xba95, v37
	v_fma_f16 v10, v31, 0x2fb7, -v51
	v_add_f16_e32 v8, v8, v9
	v_add_f16_e32 v61, v66, v61
	v_fma_f16 v66, v35, 0x388b, -v106
	v_add_f16_e32 v115, v127, v115
	v_fmamk_f16 v127, v31, 0x2fb7, v51
	v_add_f16_e32 v60, v80, v60
	v_fmac_f16_e32 v79, 0xba95, v38
	v_add_f16_e32 v61, v66, v61
	v_fma_f16 v66, v40, 0xb9fd, -v110
	v_mul_f16_e32 v54, 0xb94e, v54
	v_add_f16_e32 v63, v94, v63
	v_fmac_f16_e32 v97, 0x3770, v38
	v_add_f16_e32 v67, v105, v67
	v_add_f16_e32 v61, v66, v61
	;; [unrolled: 1-line block ×3, first 2 shown]
	v_fma_f16 v68, v31, 0xbbc4, -v116
	v_add_f16_e32 v69, v117, v20
	v_fmac_f16_e32 v108, 0x3b7b, v38
	v_fmac_f16_e32 v122, 0xb3a8, v38
	v_add_f16_e32 v11, v58, v11
	v_add_f16_e32 v66, v68, v66
	v_fma_f16 v68, v32, 0xb9fd, -v118
	v_add_f16_e32 v69, v119, v69
	v_fmac_f16_e32 v62, 0xbbf1, v38
	v_add_f16_e32 v7, v7, v8
	v_add_f16_e32 v115, v127, v115
	;; [unrolled: 1-line block ×3, first 2 shown]
	v_fmamk_f16 v127, v32, 0xb5ac, v52
	v_add_f16_e32 v60, v79, v60
	v_fmac_f16_e32 v84, 0x33a8, v39
	v_add_f16_e32 v63, v97, v63
	v_add_f16_e32 v15, v16, v66
	v_fma_f16 v16, v40, 0x3b15, -v123
	v_fmac_f16_e32 v93, 0xbbf1, v39
	v_add_f16_e32 v67, v108, v67
	v_fmac_f16_e32 v107, 0x3770, v39
	v_add_f16_e32 v29, v122, v69
	v_add_f16_e32 v15, v16, v15
	;; [unrolled: 1-line block ×3, first 2 shown]
	v_fma_f16 v25, v33, 0x3b15, -v48
	v_fmac_f16_e32 v124, 0x394e, v39
	v_add_f16_e32 v11, v62, v11
	v_fmac_f16_e32 v64, 0xbb7b, v39
	v_add_f16_e32 v16, v24, v16
	v_add_f16_e32 v12, v25, v30
	v_fma_f16 v24, v34, 0x388b, -v49
	v_add_f16_e32 v5, v5, v7
	v_add_f16_e32 v115, v127, v115
	;; [unrolled: 1-line block ×3, first 2 shown]
	v_fmamk_f16 v127, v35, 0xb9fd, v54
	v_add_f16_e32 v12, v24, v12
	v_mul_f16_e32 v65, 0xb3a8, v65
	v_fmac_f16_e32 v72, 0xbb7b, v42
	v_add_f16_e32 v16, v22, v16
	v_add_f16_e32 v60, v84, v60
	;; [unrolled: 1-line block ×3, first 2 shown]
	v_fma_f16 v10, v32, 0xb5ac, -v52
	v_fmac_f16_e32 v87, 0x3770, v42
	v_add_f16_e32 v16, v21, v16
	v_add_f16_e32 v63, v93, v63
	v_fmac_f16_e32 v100, 0x33a8, v42
	v_add_f16_e32 v8, v10, v9
	v_fma_f16 v9, v35, 0xb9fd, -v54
	v_add_f16_e32 v12, v19, v16
	v_add_f16_e32 v67, v107, v67
	v_fmac_f16_e32 v112, 0xba95, v42
	v_add_f16_e32 v28, v124, v29
	v_fmac_f16_e32 v125, 0x3bf1, v42
	v_add_f16_e32 v10, v18, v12
	v_add_f16_e32 v7, v64, v11
	v_fmac_f16_e32 v70, 0xb94e, v42
	v_add_f16_e32 v8, v9, v8
	v_add_f16_e32 v0, v0, v5
	;; [unrolled: 1-line block ×4, first 2 shown]
	v_fmamk_f16 v127, v40, 0xbbc4, v65
	v_add_f16_e32 v59, v72, v59
	v_fmac_f16_e32 v76, 0x3bf1, v43
	v_add_f16_e32 v60, v87, v60
	v_fmac_f16_e32 v89, 0xbb7b, v43
	;; [unrolled: 2-line block ×5, first 2 shown]
	v_fma_f16 v5, v40, 0xbbc4, -v65
	v_add_f16_e32 v7, v70, v7
	v_fmac_f16_e32 v73, 0xb3a8, v43
	v_lshlrev_b32_e32 v9, 16, v9
	v_and_b32_e32 v0, 0xffff, v0
	v_mul_u32_u24_e32 v10, 52, v4
	v_add_f16_e32 v115, v127, v115
	v_add_f16_e32 v59, v76, v59
	;; [unrolled: 1-line block ×8, first 2 shown]
	v_or_b32_e32 v0, v9, v0
	v_add3_u32 v8, 0, v10, v6
	v_pack_b32_f16 v9, v104, v109
	v_pack_b32_f16 v10, v55, v115
	;; [unrolled: 1-line block ×12, first 2 shown]
	ds_store_b32 v8, v0
	ds_store_2addr_b32 v8, v10, v9 offset0:1 offset1:2
	ds_store_2addr_b32 v8, v13, v12 offset0:3 offset1:4
	ds_store_2addr_b32 v8, v17, v16 offset0:5 offset1:6
	ds_store_2addr_b32 v8, v19, v18 offset0:7 offset1:8
	ds_store_2addr_b32 v8, v20, v14 offset0:9 offset1:10
	ds_store_2addr_b32 v8, v7, v5 offset0:11 offset1:12
.LBB0_14:
	s_wait_alu 0xfffe
	s_or_b32 exec_lo, exec_lo, s1
	global_wb scope:SCOPE_SE
	s_wait_loadcnt_dscnt 0x0
	s_barrier_signal -1
	s_barrier_wait -1
	global_inv scope:SCOPE_SE
	s_and_saveexec_b32 s0, vcc_lo
	s_cbranch_execz .LBB0_16
; %bb.15:
	v_mul_u32_u24_e32 v0, 10, v4
	v_lshlrev_b64_e32 v[1:2], 2, v[1:2]
	s_delay_alu instid0(VALU_DEP_2)
	v_lshlrev_b32_e32 v0, 2, v0
	s_clause 0x2
	global_load_b64 v[15:16], v0, s[4:5] offset:32
	global_load_b128 v[7:10], v0, s[4:5]
	global_load_b128 v[11:14], v0, s[4:5] offset:16
	v_lshlrev_b32_e32 v0, 2, v4
	v_mov_b32_e32 v4, 0
	v_add_co_u32 v1, vcc_lo, s8, v1
	s_wait_alu 0xfffd
	v_add_co_ci_u32_e32 v2, vcc_lo, s9, v2, vcc_lo
	v_add3_u32 v23, 0, v0, v6
	v_add3_u32 v0, 0, v6, v0
	v_lshlrev_b64_e32 v[3:4], 2, v[3:4]
	ds_load_2addr_b32 v[5:6], v23 offset0:117 offset1:130
	ds_load_2addr_b32 v[17:18], v23 offset0:13 offset1:26
	ds_load_b32 v0, v0
	ds_load_2addr_b32 v[19:20], v23 offset0:91 offset1:104
	ds_load_2addr_b32 v[21:22], v23 offset0:39 offset1:52
	;; [unrolled: 1-line block ×3, first 2 shown]
	v_add_co_u32 v1, vcc_lo, v1, v3
	s_wait_alu 0xfffd
	v_add_co_ci_u32_e32 v2, vcc_lo, v2, v4, vcc_lo
	s_wait_dscnt 0x5
	v_lshrrev_b32_e32 v3, 16, v6
	s_wait_dscnt 0x4
	v_lshrrev_b32_e32 v4, 16, v17
	v_lshrrev_b32_e32 v26, 16, v5
	;; [unrolled: 1-line block ×3, first 2 shown]
	s_wait_dscnt 0x1
	v_lshrrev_b32_e32 v31, 16, v22
	s_wait_dscnt 0x0
	v_lshrrev_b32_e32 v32, 16, v24
	v_lshrrev_b32_e32 v25, 16, v0
	;; [unrolled: 1-line block ×6, first 2 shown]
	s_wait_loadcnt 0x2
	v_lshrrev_b32_e32 v35, 16, v16
	s_wait_loadcnt 0x1
	v_lshrrev_b32_e32 v37, 16, v7
	v_mul_f16_e32 v36, v16, v3
	v_lshrrev_b32_e32 v38, 16, v8
	v_lshrrev_b32_e32 v40, 16, v10
	v_mul_f16_e32 v41, v7, v4
	s_wait_loadcnt 0x0
	v_lshrrev_b32_e32 v45, 16, v12
	v_mul_f16_e32 v4, v37, v4
	v_mul_f16_e32 v3, v35, v3
	v_lshrrev_b32_e32 v34, 16, v15
	v_lshrrev_b32_e32 v39, 16, v9
	v_mul_f16_e32 v42, v15, v26
	v_mul_f16_e32 v43, v8, v27
	v_lshrrev_b32_e32 v44, 16, v11
	v_mul_f16_e32 v51, v10, v31
	v_mul_f16_e32 v52, v12, v32
	v_fmac_f16_e32 v36, v35, v6
	v_fmac_f16_e32 v41, v37, v17
	v_mul_f16_e32 v27, v38, v27
	v_mul_f16_e32 v31, v40, v31
	;; [unrolled: 1-line block ×3, first 2 shown]
	v_fma_f16 v4, v7, v17, -v4
	v_fma_f16 v3, v6, v16, -v3
	v_lshrrev_b32_e32 v46, 16, v13
	v_lshrrev_b32_e32 v47, 16, v14
	v_mul_f16_e32 v48, v14, v28
	v_mul_f16_e32 v49, v9, v29
	;; [unrolled: 1-line block ×3, first 2 shown]
	v_fmac_f16_e32 v42, v34, v5
	v_fmac_f16_e32 v43, v38, v18
	v_mul_f16_e32 v26, v34, v26
	v_mul_f16_e32 v29, v39, v29
	v_fmac_f16_e32 v51, v40, v22
	v_fmac_f16_e32 v52, v45, v24
	v_mul_f16_e32 v33, v44, v33
	v_add_f16_e32 v34, v36, v41
	v_fma_f16 v7, v8, v18, -v27
	v_fma_f16 v10, v10, v22, -v31
	;; [unrolled: 1-line block ×3, first 2 shown]
	v_sub_f16_e32 v17, v41, v36
	v_add_f16_e32 v22, v41, v25
	v_sub_f16_e32 v24, v4, v3
	v_add_f16_e32 v35, v3, v4
	v_add_f16_e32 v4, v4, v0
	v_mul_f16_e32 v50, v13, v30
	v_fmac_f16_e32 v48, v47, v20
	v_fmac_f16_e32 v49, v39, v21
	v_mul_f16_e32 v28, v47, v28
	v_mul_f16_e32 v30, v46, v30
	v_fmac_f16_e32 v53, v44, v23
	v_add_f16_e32 v6, v42, v43
	v_fma_f16 v5, v5, v15, -v26
	v_fma_f16 v9, v9, v21, -v29
	;; [unrolled: 1-line block ×3, first 2 shown]
	v_mul_f16_e32 v23, 0xbbad, v34
	v_mul_f16_e32 v37, 0xb482, v17
	;; [unrolled: 1-line block ×6, first 2 shown]
	v_add_f16_e32 v22, v22, v43
	v_add_f16_e32 v4, v4, v7
	v_fmac_f16_e32 v50, v46, v19
	v_add_f16_e32 v8, v48, v49
	v_fma_f16 v14, v20, v14, -v28
	v_fma_f16 v13, v19, v13, -v30
	v_sub_f16_e32 v18, v43, v42
	v_sub_f16_e32 v19, v49, v48
	v_mul_f16_e32 v26, 0x3abb, v6
	v_sub_f16_e32 v27, v7, v5
	v_fmamk_f16 v43, v24, 0x3482, v23
	v_fmamk_f16 v73, v35, 0xbbad, v37
	v_fmac_f16_e32 v23, 0xb482, v24
	v_fma_f16 v37, v35, 0xbbad, -v37
	v_mul_f16_e32 v78, 0xba0c, v24
	v_fma_f16 v83, v35, 0xb93d, -v54
	v_mul_f16_e32 v88, 0xbbeb, v24
	;; [unrolled: 2-line block ×4, first 2 shown]
	v_fma_f16 v108, v35, 0x3abb, -v17
	v_fmac_f16_e32 v54, 0xb93d, v35
	v_fmac_f16_e32 v59, 0xb08e, v35
	v_fmac_f16_e32 v64, 0x36a6, v35
	v_fmac_f16_e32 v17, 0x3abb, v35
	v_add_f16_e32 v22, v22, v49
	v_add_f16_e32 v4, v4, v9
	v_mul_f16_e32 v28, 0xb93d, v8
	v_sub_f16_e32 v29, v9, v14
	v_add_f16_e32 v40, v14, v9
	v_mul_f16_e32 v41, 0xba0c, v19
	v_mul_f16_e32 v56, 0xb853, v19
	;; [unrolled: 1-line block ×5, first 2 shown]
	v_fmamk_f16 v69, v27, 0xb853, v26
	v_fmac_f16_e32 v26, 0x3853, v27
	v_mul_f16_e32 v79, 0x3beb, v27
	v_mul_f16_e32 v89, 0x3482, v27
	;; [unrolled: 1-line block ×4, first 2 shown]
	v_add_f16_e32 v35, v73, v0
	v_add_f16_e32 v37, v37, v0
	;; [unrolled: 1-line block ×5, first 2 shown]
	v_fmamk_f16 v121, v34, 0x3abb, v24
	v_add_f16_e32 v108, v108, v0
	v_add_f16_e32 v54, v54, v0
	;; [unrolled: 1-line block ×4, first 2 shown]
	v_fma_f16 v24, v34, 0x3abb, -v24
	v_add_f16_e32 v0, v17, v0
	v_add_f16_e32 v17, v22, v51
	;; [unrolled: 1-line block ×5, first 2 shown]
	v_fmamk_f16 v70, v29, 0x3a0c, v28
	v_fmamk_f16 v75, v40, 0xb93d, v41
	v_fmac_f16_e32 v28, 0xba0c, v29
	v_fma_f16 v41, v40, 0xb93d, -v41
	v_mul_f16_e32 v80, 0xb853, v29
	v_fma_f16 v85, v40, 0x3abb, -v56
	v_mul_f16_e32 v90, 0x3b47, v29
	;; [unrolled: 2-line block ×4, first 2 shown]
	v_fma_f16 v110, v40, 0xb08e, -v19
	v_fmac_f16_e32 v56, 0x3abb, v40
	v_fmac_f16_e32 v61, 0x36a6, v40
	v_fmac_f16_e32 v66, 0xbbad, v40
	v_fmac_f16_e32 v19, 0xb08e, v40
	v_fmamk_f16 v40, v6, 0xb08e, v79
	v_fmamk_f16 v83, v6, 0xbbad, v89
	;; [unrolled: 1-line block ×4, first 2 shown]
	v_fma_f16 v79, v6, 0xb08e, -v79
	v_fma_f16 v89, v6, 0xbbad, -v89
	;; [unrolled: 1-line block ×4, first 2 shown]
	v_add_f16_e32 v24, v24, v25
	v_add_f16_e32 v17, v17, v53
	v_add_f16_e32 v4, v4, v11
	v_sub_f16_e32 v20, v51, v50
	v_mul_f16_e32 v30, 0x36a6, v15
	v_sub_f16_e32 v31, v10, v13
	v_add_f16_e32 v38, v5, v7
	v_mul_f16_e32 v39, 0x3853, v18
	v_mul_f16_e32 v55, 0x3beb, v18
	v_mul_f16_e32 v60, 0x3482, v18
	v_mul_f16_e32 v65, 0xba0c, v18
	v_mul_f16_e32 v18, 0xbb47, v18
	v_sub_f16_e32 v21, v53, v52
	v_mul_f16_e32 v32, 0xb08e, v16
	v_sub_f16_e32 v33, v11, v12
	v_add_f16_e32 v7, v43, v25
	v_fmamk_f16 v43, v8, 0x3abb, v80
	v_fmamk_f16 v113, v8, 0x36a6, v90
	;; [unrolled: 1-line block ×4, first 2 shown]
	v_fma_f16 v80, v8, 0x3abb, -v80
	v_fma_f16 v90, v8, 0x36a6, -v90
	;; [unrolled: 1-line block ×4, first 2 shown]
	v_add_f16_e32 v6, v24, v6
	v_add_f16_e32 v17, v52, v17
	;; [unrolled: 1-line block ×4, first 2 shown]
	v_mul_f16_e32 v45, 0x3b47, v20
	v_mul_f16_e32 v57, 0xb482, v20
	;; [unrolled: 1-line block ×5, first 2 shown]
	v_fmamk_f16 v71, v31, 0xbb47, v30
	v_fmamk_f16 v74, v38, 0x3abb, v39
	v_fmac_f16_e32 v30, 0x3b47, v31
	v_fma_f16 v39, v38, 0x3abb, -v39
	v_mul_f16_e32 v81, 0xb482, v31
	v_fma_f16 v84, v38, 0xb08e, -v55
	v_mul_f16_e32 v91, 0xb853, v31
	;; [unrolled: 2-line block ×4, first 2 shown]
	v_fma_f16 v109, v38, 0x36a6, -v18
	v_fmac_f16_e32 v55, 0xb08e, v38
	v_fmac_f16_e32 v60, 0xbbad, v38
	;; [unrolled: 1-line block ×4, first 2 shown]
	v_add_f16_e32 v23, v23, v25
	v_fmamk_f16 v38, v34, 0xb93d, v78
	v_fmamk_f16 v73, v34, 0xb08e, v88
	v_add_f16_e32 v46, v12, v11
	v_mul_f16_e32 v47, 0xbbeb, v21
	v_mul_f16_e32 v58, 0x3b47, v21
	;; [unrolled: 1-line block ×5, first 2 shown]
	v_fmamk_f16 v72, v33, 0x3beb, v32
	v_fmac_f16_e32 v32, 0xbbeb, v33
	v_mul_f16_e32 v82, 0x3b47, v33
	v_mul_f16_e32 v92, 0xba0c, v33
	;; [unrolled: 1-line block ×4, first 2 shown]
	v_fmamk_f16 v116, v34, 0x36a6, v98
	v_fma_f16 v78, v34, 0xb93d, -v78
	v_fma_f16 v88, v34, 0xb08e, -v88
	;; [unrolled: 1-line block ×3, first 2 shown]
	v_add_f16_e32 v6, v6, v8
	v_add_f16_e32 v8, v50, v17
	;; [unrolled: 1-line block ×3, first 2 shown]
	v_fmamk_f16 v76, v44, 0x36a6, v45
	v_fma_f16 v45, v44, 0x36a6, -v45
	v_fma_f16 v86, v44, 0xbbad, -v57
	;; [unrolled: 1-line block ×5, first 2 shown]
	v_fmac_f16_e32 v57, 0xbbad, v44
	v_fmac_f16_e32 v62, 0x3abb, v44
	;; [unrolled: 1-line block ×4, first 2 shown]
	v_fmamk_f16 v44, v15, 0xbbad, v81
	v_fmamk_f16 v114, v15, 0x3abb, v91
	;; [unrolled: 1-line block ×4, first 2 shown]
	v_fma_f16 v81, v15, 0xbbad, -v81
	v_fma_f16 v91, v15, 0x3abb, -v91
	;; [unrolled: 1-line block ×4, first 2 shown]
	v_add_f16_e32 v9, v35, v74
	v_add_f16_e32 v22, v23, v26
	;; [unrolled: 1-line block ×8, first 2 shown]
	v_fmamk_f16 v77, v46, 0xb08e, v47
	v_fma_f16 v47, v46, 0xb08e, -v47
	v_fma_f16 v87, v46, 0x36a6, -v58
	;; [unrolled: 1-line block ×5, first 2 shown]
	v_fmac_f16_e32 v58, 0x36a6, v46
	v_fmac_f16_e32 v63, 0xb93d, v46
	;; [unrolled: 1-line block ×4, first 2 shown]
	v_fmamk_f16 v46, v16, 0x36a6, v82
	v_fmamk_f16 v115, v16, 0xb93d, v92
	;; [unrolled: 1-line block ×4, first 2 shown]
	v_fma_f16 v82, v16, 0x36a6, -v82
	v_fma_f16 v92, v16, 0xb93d, -v92
	;; [unrolled: 1-line block ×4, first 2 shown]
	v_add_f16_e32 v33, v116, v25
	v_add_f16_e32 v34, v103, v104
	;; [unrolled: 1-line block ×54, first 2 shown]
	v_and_b32_e32 v3, 0xffff, v3
	v_add_f16_e32 v23, v26, v124
	v_add_f16_e32 v0, v0, v20
	;; [unrolled: 1-line block ×14, first 2 shown]
	v_lshlrev_b32_e32 v8, 16, v8
	v_add_f16_e32 v7, v7, v72
	v_add_f16_e32 v9, v9, v77
	v_add_f16_e32 v15, v23, v125
	v_add_f16_e32 v10, v10, v32
	v_add_f16_e32 v11, v11, v47
	v_add_f16_e32 v14, v20, v120
	v_add_f16_e32 v13, v18, v115
	v_add_f16_e32 v12, v12, v46
	v_add_f16_e32 v28, v31, v63
	v_add_f16_e32 v30, v34, v68
	v_add_f16_e32 v0, v0, v21
	v_add_f16_e32 v5, v25, v82
	v_add_f16_e32 v18, v27, v92
	v_add_f16_e32 v20, v29, v102
	v_add_f16_e32 v4, v6, v16
	v_or_b32_e32 v3, v8, v3
	v_pack_b32_f16 v7, v9, v7
	v_pack_b32_f16 v9, v24, v15
	;; [unrolled: 1-line block ×10, first 2 shown]
	s_clause 0xa
	global_store_b32 v[1:2], v3, off
	global_store_b32 v[1:2], v9, off offset:52
	global_store_b32 v[1:2], v10, off offset:104
	;; [unrolled: 1-line block ×10, first 2 shown]
.LBB0_16:
	s_nop 0
	s_sendmsg sendmsg(MSG_DEALLOC_VGPRS)
	s_endpgm
	.section	.rodata,"a",@progbits
	.p2align	6, 0x0
	.amdhsa_kernel fft_rtc_fwd_len143_factors_13_11_wgs_182_tpt_13_half_ip_CI_unitstride_sbrr_dirReg
		.amdhsa_group_segment_fixed_size 0
		.amdhsa_private_segment_fixed_size 0
		.amdhsa_kernarg_size 88
		.amdhsa_user_sgpr_count 2
		.amdhsa_user_sgpr_dispatch_ptr 0
		.amdhsa_user_sgpr_queue_ptr 0
		.amdhsa_user_sgpr_kernarg_segment_ptr 1
		.amdhsa_user_sgpr_dispatch_id 0
		.amdhsa_user_sgpr_private_segment_size 0
		.amdhsa_wavefront_size32 1
		.amdhsa_uses_dynamic_stack 0
		.amdhsa_enable_private_segment 0
		.amdhsa_system_sgpr_workgroup_id_x 1
		.amdhsa_system_sgpr_workgroup_id_y 0
		.amdhsa_system_sgpr_workgroup_id_z 0
		.amdhsa_system_sgpr_workgroup_info 0
		.amdhsa_system_vgpr_workitem_id 0
		.amdhsa_next_free_vgpr 129
		.amdhsa_next_free_sgpr 32
		.amdhsa_reserve_vcc 1
		.amdhsa_float_round_mode_32 0
		.amdhsa_float_round_mode_16_64 0
		.amdhsa_float_denorm_mode_32 3
		.amdhsa_float_denorm_mode_16_64 3
		.amdhsa_fp16_overflow 0
		.amdhsa_workgroup_processor_mode 1
		.amdhsa_memory_ordered 1
		.amdhsa_forward_progress 0
		.amdhsa_round_robin_scheduling 0
		.amdhsa_exception_fp_ieee_invalid_op 0
		.amdhsa_exception_fp_denorm_src 0
		.amdhsa_exception_fp_ieee_div_zero 0
		.amdhsa_exception_fp_ieee_overflow 0
		.amdhsa_exception_fp_ieee_underflow 0
		.amdhsa_exception_fp_ieee_inexact 0
		.amdhsa_exception_int_div_zero 0
	.end_amdhsa_kernel
	.text
.Lfunc_end0:
	.size	fft_rtc_fwd_len143_factors_13_11_wgs_182_tpt_13_half_ip_CI_unitstride_sbrr_dirReg, .Lfunc_end0-fft_rtc_fwd_len143_factors_13_11_wgs_182_tpt_13_half_ip_CI_unitstride_sbrr_dirReg
                                        ; -- End function
	.section	.AMDGPU.csdata,"",@progbits
; Kernel info:
; codeLenInByte = 7276
; NumSgprs: 34
; NumVgprs: 129
; ScratchSize: 0
; MemoryBound: 0
; FloatMode: 240
; IeeeMode: 1
; LDSByteSize: 0 bytes/workgroup (compile time only)
; SGPRBlocks: 4
; VGPRBlocks: 16
; NumSGPRsForWavesPerEU: 34
; NumVGPRsForWavesPerEU: 129
; Occupancy: 10
; WaveLimiterHint : 1
; COMPUTE_PGM_RSRC2:SCRATCH_EN: 0
; COMPUTE_PGM_RSRC2:USER_SGPR: 2
; COMPUTE_PGM_RSRC2:TRAP_HANDLER: 0
; COMPUTE_PGM_RSRC2:TGID_X_EN: 1
; COMPUTE_PGM_RSRC2:TGID_Y_EN: 0
; COMPUTE_PGM_RSRC2:TGID_Z_EN: 0
; COMPUTE_PGM_RSRC2:TIDIG_COMP_CNT: 0
	.text
	.p2alignl 7, 3214868480
	.fill 96, 4, 3214868480
	.type	__hip_cuid_c3838700b3d144a3,@object ; @__hip_cuid_c3838700b3d144a3
	.section	.bss,"aw",@nobits
	.globl	__hip_cuid_c3838700b3d144a3
__hip_cuid_c3838700b3d144a3:
	.byte	0                               ; 0x0
	.size	__hip_cuid_c3838700b3d144a3, 1

	.ident	"AMD clang version 19.0.0git (https://github.com/RadeonOpenCompute/llvm-project roc-6.4.0 25133 c7fe45cf4b819c5991fe208aaa96edf142730f1d)"
	.section	".note.GNU-stack","",@progbits
	.addrsig
	.addrsig_sym __hip_cuid_c3838700b3d144a3
	.amdgpu_metadata
---
amdhsa.kernels:
  - .args:
      - .actual_access:  read_only
        .address_space:  global
        .offset:         0
        .size:           8
        .value_kind:     global_buffer
      - .offset:         8
        .size:           8
        .value_kind:     by_value
      - .actual_access:  read_only
        .address_space:  global
        .offset:         16
        .size:           8
        .value_kind:     global_buffer
      - .actual_access:  read_only
        .address_space:  global
        .offset:         24
        .size:           8
        .value_kind:     global_buffer
      - .offset:         32
        .size:           8
        .value_kind:     by_value
      - .actual_access:  read_only
        .address_space:  global
        .offset:         40
        .size:           8
        .value_kind:     global_buffer
      - .actual_access:  read_only
        .address_space:  global
        .offset:         48
        .size:           8
        .value_kind:     global_buffer
      - .offset:         56
        .size:           4
        .value_kind:     by_value
      - .actual_access:  read_only
        .address_space:  global
        .offset:         64
        .size:           8
        .value_kind:     global_buffer
      - .actual_access:  read_only
        .address_space:  global
        .offset:         72
        .size:           8
        .value_kind:     global_buffer
      - .address_space:  global
        .offset:         80
        .size:           8
        .value_kind:     global_buffer
    .group_segment_fixed_size: 0
    .kernarg_segment_align: 8
    .kernarg_segment_size: 88
    .language:       OpenCL C
    .language_version:
      - 2
      - 0
    .max_flat_workgroup_size: 182
    .name:           fft_rtc_fwd_len143_factors_13_11_wgs_182_tpt_13_half_ip_CI_unitstride_sbrr_dirReg
    .private_segment_fixed_size: 0
    .sgpr_count:     34
    .sgpr_spill_count: 0
    .symbol:         fft_rtc_fwd_len143_factors_13_11_wgs_182_tpt_13_half_ip_CI_unitstride_sbrr_dirReg.kd
    .uniform_work_group_size: 1
    .uses_dynamic_stack: false
    .vgpr_count:     129
    .vgpr_spill_count: 0
    .wavefront_size: 32
    .workgroup_processor_mode: 1
amdhsa.target:   amdgcn-amd-amdhsa--gfx1201
amdhsa.version:
  - 1
  - 2
...

	.end_amdgpu_metadata
